;; amdgpu-corpus repo=zjin-lcf/HeCBench kind=compiled arch=gfx950 opt=O3
	.amdgcn_target "amdgcn-amd-amdhsa--gfx950"
	.amdhsa_code_object_version 6
	.text
	.protected	_Z9boxmullerPfi         ; -- Begin function _Z9boxmullerPfi
	.globl	_Z9boxmullerPfi
	.p2align	8
	.type	_Z9boxmullerPfi,@function
_Z9boxmullerPfi:                        ; @_Z9boxmullerPfi
; %bb.0:
	s_load_dword s12, s[0:1], 0x8
	s_waitcnt lgkmcnt(0)
	s_cmp_lt_i32 s12, 1
	s_cbranch_scc1 .LBB0_11
; %bb.1:
	s_load_dword s3, s[0:1], 0x1c
	s_load_dwordx2 s[8:9], s[0:1], 0x0
	s_mov_b32 s13, 0
	s_brev_b32 s14, 18
	s_mov_b32 s15, 0x800000
	s_waitcnt lgkmcnt(0)
	s_and_b32 s0, s3, 0xffff
	s_mul_i32 s2, s2, s0
	v_add_u32_e32 v0, s2, v0
	s_mov_b32 s16, 0xfe5163ab
	v_mov_b32_e32 v3, 0
	s_mov_b32 s17, 0x3c439041
	s_mov_b32 s18, 0xdb629599
	;; [unrolled: 1-line block ×12, first 2 shown]
	v_mov_b32_e32 v8, 0x260
	v_mov_b32_e32 v9, 0x3c0881c4
	;; [unrolled: 1-line block ×3, first 2 shown]
	s_brev_b32 s29, 1
	s_movk_i32 s30, 0x1f8
	v_not_b32_e32 v11, 63
	v_not_b32_e32 v12, 31
	v_mov_b32_e32 v13, 0x41b17218
	v_mov_b32_e32 v14, 0x7fc00000
                                        ; implicit-def: $vgpr1
                                        ; implicit-def: $vgpr1
	;; [unrolled: 1-line block ×3, first 2 shown]
	s_branch .LBB0_3
.LBB0_2:                                ;   in Loop: Header=BB0_3 Depth=1
	s_or_b64 exec, exec, s[0:1]
	v_mul_f32_e32 v7, v6, v6
	v_fmamk_f32 v17, v7, 0xb94c1982, v9
	v_fmaak_f32 v17, v7, v17, 0xbe2aaa9d
	v_mul_f32_e32 v17, v7, v17
	v_fmac_f32_e32 v6, v6, v17
	v_fmamk_f32 v17, v7, 0x37d75334, v10
	v_fmaak_f32 v17, v7, v17, 0x3d2aabf7
	v_fmaak_f32 v17, v7, v17, 0xbf000004
	v_fma_f32 v7, v7, v17, 1.0
	v_and_b32_e32 v17, 1, v2
	v_lshlrev_b32_e32 v2, 30, v2
	v_cmp_eq_u32_e64 s[0:1], 0, v17
	v_and_b32_e32 v2, 0x80000000, v2
	v_xor_b32_e32 v1, v15, v1
	v_cndmask_b32_e64 v6, v7, v6, s[0:1]
	v_xor_b32_e32 v1, v1, v2
	v_xor_b32_e32 v1, v1, v6
	v_cndmask_b32_e32 v1, v14, v1, vcc
	s_add_i32 s13, s13, 2
	v_mul_f32_e32 v1, v16, v1
	s_cmp_ge_i32 s13, s12
	v_add_u32_e32 v0, 0x2000, v0
	global_store_dword v[4:5], v1, off
	s_cbranch_scc1 .LBB0_11
.LBB0_3:                                ; =>This Inner Loop Header: Depth=1
	v_add_u32_e32 v4, 0x1000, v0
	v_ashrrev_i32_e32 v5, 31, v4
	v_lshl_add_u64 v[4:5], v[4:5], 2, s[8:9]
	global_load_dword v2, v[4:5], off
	v_ashrrev_i32_e32 v1, 31, v0
	v_lshl_add_u64 v[6:7], v[0:1], 2, s[8:9]
	global_load_dword v16, v[6:7], off
                                        ; implicit-def: $vgpr17
	s_waitcnt vmcnt(1)
	v_mul_f32_e32 v1, 0x40c90fdb, v2
	v_and_b32_e32 v15, 0x7fffffff, v1
	v_cmp_nlt_f32_e64 s[6:7], |v1|, s14
                                        ; implicit-def: $vgpr2
	s_and_saveexec_b64 s[0:1], s[6:7]
	s_xor_b64 s[10:11], exec, s[0:1]
	s_cbranch_execz .LBB0_5
; %bb.4:                                ;   in Loop: Header=BB0_3 Depth=1
	v_lshrrev_b32_e32 v2, 23, v15
	v_add_u32_e32 v2, 0xffffff88, v2
	v_cmp_lt_u32_e32 vcc, 63, v2
	s_nop 1
	v_cndmask_b32_e32 v17, 0, v11, vcc
	v_add_u32_e32 v2, v17, v2
	v_cmp_lt_u32_e64 s[0:1], 31, v2
	s_nop 1
	v_cndmask_b32_e64 v17, 0, v12, s[0:1]
	v_add_u32_e32 v2, v17, v2
	v_cmp_lt_u32_e64 s[2:3], 31, v2
	s_nop 1
	v_cndmask_b32_e64 v17, 0, v12, s[2:3]
	v_add_u32_e32 v17, v17, v2
	v_and_b32_e32 v2, 0x7fffff, v15
	v_or_b32_e32 v30, 0x800000, v2
	v_mad_u64_u32 v[18:19], s[4:5], v30, s16, 0
	v_mov_b32_e32 v2, v19
	v_mad_u64_u32 v[20:21], s[4:5], v30, s17, v[2:3]
	v_mov_b32_e32 v2, v21
	;; [unrolled: 2-line block ×6, first 2 shown]
	v_mad_u64_u32 v[30:31], s[4:5], v30, s22, v[2:3]
	v_cndmask_b32_e32 v19, v28, v24, vcc
	v_cndmask_b32_e32 v2, v30, v26, vcc
	;; [unrolled: 1-line block ×3, first 2 shown]
	v_cndmask_b32_e64 v21, v2, v19, s[0:1]
	v_cndmask_b32_e64 v2, v23, v2, s[0:1]
	v_cndmask_b32_e32 v23, v26, v22, vcc
	v_cndmask_b32_e64 v19, v19, v23, s[0:1]
	v_sub_u32_e32 v25, 32, v17
	v_cmp_eq_u32_e64 s[4:5], 0, v17
	v_cndmask_b32_e32 v17, v24, v20, vcc
	v_cndmask_b32_e64 v2, v2, v21, s[2:3]
	v_cndmask_b32_e64 v21, v21, v19, s[2:3]
	;; [unrolled: 1-line block ×3, first 2 shown]
	v_alignbit_b32 v26, v2, v21, v25
	v_cndmask_b32_e64 v19, v19, v20, s[2:3]
	v_cndmask_b32_e64 v2, v26, v2, s[4:5]
	v_alignbit_b32 v23, v21, v19, v25
	v_cndmask_b32_e32 v18, v22, v18, vcc
	v_cndmask_b32_e64 v21, v23, v21, s[4:5]
	v_bfe_u32 v26, v2, 29, 1
	v_cndmask_b32_e64 v17, v17, v18, s[0:1]
	v_alignbit_b32 v23, v2, v21, 30
	v_sub_u32_e32 v27, 0, v26
	v_cndmask_b32_e64 v17, v20, v17, s[2:3]
	v_xor_b32_e32 v23, v23, v27
	v_alignbit_b32 v18, v19, v17, v25
	v_cndmask_b32_e64 v18, v18, v19, s[4:5]
	v_ffbh_u32_e32 v20, v23
	v_alignbit_b32 v19, v21, v18, 30
	v_min_u32_e32 v20, 32, v20
	v_alignbit_b32 v17, v18, v17, 30
	v_xor_b32_e32 v19, v19, v27
	v_sub_u32_e32 v21, 31, v20
	v_xor_b32_e32 v17, v17, v27
	v_alignbit_b32 v22, v23, v19, v21
	v_alignbit_b32 v17, v19, v17, v21
	;; [unrolled: 1-line block ×3, first 2 shown]
	v_ffbh_u32_e32 v19, v18
	v_min_u32_e32 v19, 32, v19
	v_lshrrev_b32_e32 v24, 29, v2
	v_not_b32_e32 v21, v19
	v_alignbit_b32 v17, v18, v17, v21
	v_lshlrev_b32_e32 v18, 31, v24
	v_or_b32_e32 v21, 0x33000000, v18
	v_add_lshl_u32 v19, v19, v20, 23
	v_lshrrev_b32_e32 v17, 9, v17
	v_sub_u32_e32 v19, v21, v19
	v_or_b32_e32 v18, 0.5, v18
	v_lshlrev_b32_e32 v20, 23, v20
	v_or_b32_e32 v17, v19, v17
	v_lshrrev_b32_e32 v19, 9, v22
	v_sub_u32_e32 v18, v18, v20
	v_or_b32_e32 v18, v19, v18
	v_mul_f32_e32 v19, 0x3fc90fda, v18
	v_fma_f32 v20, v18, s23, -v19
	v_fmac_f32_e32 v20, 0x33a22168, v18
	v_fmac_f32_e32 v20, 0x3fc90fda, v17
	v_lshrrev_b32_e32 v2, 30, v2
	v_add_f32_e32 v17, v19, v20
	v_add_u32_e32 v2, v26, v2
.LBB0_5:                                ;   in Loop: Header=BB0_3 Depth=1
	s_andn2_saveexec_b64 s[0:1], s[10:11]
; %bb.6:                                ;   in Loop: Header=BB0_3 Depth=1
	v_mul_f32_e64 v2, |v1|, s24
	v_rndne_f32_e32 v18, v2
	v_cvt_i32_f32_e32 v2, v18
	v_fma_f32 v17, v18, s25, |v1|
	v_fmac_f32_e32 v17, 0xb3a22168, v18
	v_fmac_f32_e32 v17, 0xa7c234c4, v18
; %bb.7:                                ;   in Loop: Header=BB0_3 Depth=1
	s_or_b64 exec, exec, s[0:1]
	s_waitcnt vmcnt(0)
	v_cmp_gt_f32_e32 vcc, s15, v16
	s_nop 1
	v_cndmask_b32_e64 v18, 0, 32, vcc
	v_ldexp_f32 v16, v16, v18
	v_log_f32_e32 v16, v16
	v_cndmask_b32_e32 v18, 0, v13, vcc
	v_mul_f32_e32 v19, 0x3f317217, v16
	v_fma_f32 v19, v16, s26, -v19
	v_fmac_f32_e32 v19, 0x3377d1cf, v16
	v_fmac_f32_e32 v19, 0x3f317217, v16
	v_cmp_lt_f32_e64 vcc, |v16|, s27
	s_nop 1
	v_cndmask_b32_e32 v16, v16, v19, vcc
	v_sub_f32_e32 v16, v16, v18
	v_mul_f32_e32 v16, -2.0, v16
	v_mul_f32_e32 v18, 0x4f800000, v16
	v_cmp_gt_f32_e32 vcc, s28, v16
	s_nop 1
	v_cndmask_b32_e32 v16, v16, v18, vcc
	v_sqrt_f32_e32 v18, v16
	s_nop 0
	v_add_u32_e32 v19, -1, v18
	v_fma_f32 v21, -v19, v18, v16
	v_add_u32_e32 v20, 1, v18
	v_cmp_ge_f32_e64 s[0:1], 0, v21
	s_nop 1
	v_cndmask_b32_e64 v19, v18, v19, s[0:1]
	v_fma_f32 v18, -v20, v18, v16
	v_cmp_lt_f32_e64 s[0:1], 0, v18
	s_nop 1
	v_cndmask_b32_e64 v18, v19, v20, s[0:1]
	v_mul_f32_e32 v19, 0x37800000, v18
	v_cndmask_b32_e32 v18, v18, v19, vcc
	v_cmp_class_f32_e32 vcc, v16, v8
	s_nop 1
	v_cndmask_b32_e32 v16, v18, v16, vcc
	v_mul_f32_e32 v18, v17, v17
	v_fmamk_f32 v19, v18, 0xb94c1982, v9
	v_fmaak_f32 v19, v18, v19, 0xbe2aaa9d
	v_mul_f32_e32 v19, v18, v19
	v_fmac_f32_e32 v17, v17, v19
	v_fmamk_f32 v19, v18, 0x37d75334, v10
	v_fmaak_f32 v19, v18, v19, 0x3d2aabf7
	v_fmaak_f32 v19, v18, v19, 0xbf000004
	v_fma_f32 v18, v18, v19, 1.0
	v_and_b32_e32 v19, 1, v2
	v_cmp_eq_u32_e32 vcc, 0, v19
	v_lshlrev_b32_e32 v2, 30, v2
	s_nop 0
	v_cndmask_b32_e64 v17, -v17, v18, vcc
	v_bitop3_b32 v2, v2, v17, s29 bitop3:0x6c
	v_cmp_class_f32_e64 vcc, v1, s30
	s_nop 1
	v_cndmask_b32_e32 v2, v14, v2, vcc
	v_mul_f32_e32 v2, v16, v2
	global_store_dword v[6:7], v2, off
                                        ; implicit-def: $vgpr2
                                        ; implicit-def: $vgpr6
	s_and_saveexec_b64 s[0:1], s[6:7]
	s_xor_b64 s[10:11], exec, s[0:1]
	s_cbranch_execz .LBB0_9
; %bb.8:                                ;   in Loop: Header=BB0_3 Depth=1
	v_lshrrev_b32_e32 v2, 23, v15
	v_add_u32_e32 v2, 0xffffff88, v2
	v_cmp_lt_u32_e64 s[0:1], 63, v2
	s_nop 1
	v_cndmask_b32_e64 v6, 0, v11, s[0:1]
	v_add_u32_e32 v2, v6, v2
	v_cmp_lt_u32_e64 s[2:3], 31, v2
	s_nop 1
	v_cndmask_b32_e64 v6, 0, v12, s[2:3]
	;; [unrolled: 4-line block ×3, first 2 shown]
	v_add_u32_e32 v17, v6, v2
	v_and_b32_e32 v2, 0x7fffff, v15
	v_or_b32_e32 v28, 0x800000, v2
	v_mad_u64_u32 v[6:7], s[6:7], v28, s16, 0
	v_mov_b32_e32 v2, v7
	v_mad_u64_u32 v[18:19], s[6:7], v28, s17, v[2:3]
	v_mov_b32_e32 v2, v19
	;; [unrolled: 2-line block ×6, first 2 shown]
	v_mad_u64_u32 v[28:29], s[6:7], v28, s22, v[2:3]
	v_cndmask_b32_e64 v7, v26, v22, s[0:1]
	v_cndmask_b32_e64 v2, v28, v24, s[0:1]
	;; [unrolled: 1-line block ×7, first 2 shown]
	v_sub_u32_e32 v23, 32, v17
	v_cmp_eq_u32_e64 s[6:7], 0, v17
	v_cndmask_b32_e64 v17, v22, v18, s[0:1]
	v_cndmask_b32_e64 v2, v2, v19, s[4:5]
	v_cndmask_b32_e64 v19, v19, v7, s[4:5]
	v_cndmask_b32_e64 v18, v21, v17, s[2:3]
	v_alignbit_b32 v24, v2, v19, v23
	v_cndmask_b32_e64 v7, v7, v18, s[4:5]
	v_cndmask_b32_e64 v2, v24, v2, s[6:7]
	v_alignbit_b32 v21, v19, v7, v23
	v_cndmask_b32_e64 v6, v20, v6, s[0:1]
	v_cndmask_b32_e64 v19, v21, v19, s[6:7]
	v_bfe_u32 v24, v2, 29, 1
	v_cndmask_b32_e64 v6, v17, v6, s[2:3]
	v_alignbit_b32 v21, v2, v19, 30
	v_sub_u32_e32 v25, 0, v24
	v_cndmask_b32_e64 v6, v18, v6, s[4:5]
	v_xor_b32_e32 v21, v21, v25
	v_alignbit_b32 v17, v7, v6, v23
	v_cndmask_b32_e64 v7, v17, v7, s[6:7]
	v_ffbh_u32_e32 v18, v21
	v_alignbit_b32 v17, v19, v7, 30
	v_min_u32_e32 v18, 32, v18
	v_alignbit_b32 v6, v7, v6, 30
	v_xor_b32_e32 v17, v17, v25
	v_sub_u32_e32 v19, 31, v18
	v_xor_b32_e32 v6, v6, v25
	v_alignbit_b32 v20, v21, v17, v19
	v_alignbit_b32 v6, v17, v6, v19
	;; [unrolled: 1-line block ×3, first 2 shown]
	v_ffbh_u32_e32 v17, v7
	v_min_u32_e32 v17, 32, v17
	v_lshrrev_b32_e32 v22, 29, v2
	v_not_b32_e32 v19, v17
	v_alignbit_b32 v6, v7, v6, v19
	v_lshlrev_b32_e32 v7, 31, v22
	v_or_b32_e32 v19, 0x33000000, v7
	v_add_lshl_u32 v17, v17, v18, 23
	v_lshrrev_b32_e32 v6, 9, v6
	v_sub_u32_e32 v17, v19, v17
	v_or_b32_e32 v7, 0.5, v7
	v_lshlrev_b32_e32 v18, 23, v18
	v_or_b32_e32 v6, v17, v6
	v_lshrrev_b32_e32 v17, 9, v20
	v_sub_u32_e32 v7, v7, v18
	v_or_b32_e32 v7, v17, v7
	v_mul_f32_e32 v17, 0x3fc90fda, v7
	v_fma_f32 v18, v7, s23, -v17
	v_fmac_f32_e32 v18, 0x33a22168, v7
	v_fmac_f32_e32 v18, 0x3fc90fda, v6
	v_lshrrev_b32_e32 v2, 30, v2
	v_add_f32_e32 v6, v17, v18
	v_add_u32_e32 v2, v24, v2
.LBB0_9:                                ;   in Loop: Header=BB0_3 Depth=1
	s_andn2_saveexec_b64 s[0:1], s[10:11]
	s_cbranch_execz .LBB0_2
; %bb.10:                               ;   in Loop: Header=BB0_3 Depth=1
	v_mul_f32_e64 v2, |v1|, s24
	v_rndne_f32_e32 v7, v2
	v_cvt_i32_f32_e32 v2, v7
	v_fma_f32 v6, v7, s25, |v1|
	v_fmac_f32_e32 v6, 0xb3a22168, v7
	v_fmac_f32_e32 v6, 0xa7c234c4, v7
	s_branch .LBB0_2
.LBB0_11:
	s_endpgm
	.section	.rodata,"a",@progbits
	.p2align	6, 0x0
	.amdhsa_kernel _Z9boxmullerPfi
		.amdhsa_group_segment_fixed_size 0
		.amdhsa_private_segment_fixed_size 0
		.amdhsa_kernarg_size 272
		.amdhsa_user_sgpr_count 2
		.amdhsa_user_sgpr_dispatch_ptr 0
		.amdhsa_user_sgpr_queue_ptr 0
		.amdhsa_user_sgpr_kernarg_segment_ptr 1
		.amdhsa_user_sgpr_dispatch_id 0
		.amdhsa_user_sgpr_kernarg_preload_length 0
		.amdhsa_user_sgpr_kernarg_preload_offset 0
		.amdhsa_user_sgpr_private_segment_size 0
		.amdhsa_uses_dynamic_stack 0
		.amdhsa_enable_private_segment 0
		.amdhsa_system_sgpr_workgroup_id_x 1
		.amdhsa_system_sgpr_workgroup_id_y 0
		.amdhsa_system_sgpr_workgroup_id_z 0
		.amdhsa_system_sgpr_workgroup_info 0
		.amdhsa_system_vgpr_workitem_id 0
		.amdhsa_next_free_vgpr 32
		.amdhsa_next_free_sgpr 31
		.amdhsa_accum_offset 32
		.amdhsa_reserve_vcc 1
		.amdhsa_float_round_mode_32 0
		.amdhsa_float_round_mode_16_64 0
		.amdhsa_float_denorm_mode_32 3
		.amdhsa_float_denorm_mode_16_64 3
		.amdhsa_dx10_clamp 1
		.amdhsa_ieee_mode 1
		.amdhsa_fp16_overflow 0
		.amdhsa_tg_split 0
		.amdhsa_exception_fp_ieee_invalid_op 0
		.amdhsa_exception_fp_denorm_src 0
		.amdhsa_exception_fp_ieee_div_zero 0
		.amdhsa_exception_fp_ieee_overflow 0
		.amdhsa_exception_fp_ieee_underflow 0
		.amdhsa_exception_fp_ieee_inexact 0
		.amdhsa_exception_int_div_zero 0
	.end_amdhsa_kernel
	.text
.Lfunc_end0:
	.size	_Z9boxmullerPfi, .Lfunc_end0-_Z9boxmullerPfi
                                        ; -- End function
	.set _Z9boxmullerPfi.num_vgpr, 32
	.set _Z9boxmullerPfi.num_agpr, 0
	.set _Z9boxmullerPfi.numbered_sgpr, 31
	.set _Z9boxmullerPfi.num_named_barrier, 0
	.set _Z9boxmullerPfi.private_seg_size, 0
	.set _Z9boxmullerPfi.uses_vcc, 1
	.set _Z9boxmullerPfi.uses_flat_scratch, 0
	.set _Z9boxmullerPfi.has_dyn_sized_stack, 0
	.set _Z9boxmullerPfi.has_recursion, 0
	.set _Z9boxmullerPfi.has_indirect_call, 0
	.section	.AMDGPU.csdata,"",@progbits
; Kernel info:
; codeLenInByte = 2012
; TotalNumSgprs: 37
; NumVgprs: 32
; NumAgprs: 0
; TotalNumVgprs: 32
; ScratchSize: 0
; MemoryBound: 0
; FloatMode: 240
; IeeeMode: 1
; LDSByteSize: 0 bytes/workgroup (compile time only)
; SGPRBlocks: 4
; VGPRBlocks: 3
; NumSGPRsForWavesPerEU: 37
; NumVGPRsForWavesPerEU: 32
; AccumOffset: 32
; Occupancy: 8
; WaveLimiterHint : 0
; COMPUTE_PGM_RSRC2:SCRATCH_EN: 0
; COMPUTE_PGM_RSRC2:USER_SGPR: 2
; COMPUTE_PGM_RSRC2:TRAP_HANDLER: 0
; COMPUTE_PGM_RSRC2:TGID_X_EN: 1
; COMPUTE_PGM_RSRC2:TGID_Y_EN: 0
; COMPUTE_PGM_RSRC2:TGID_Z_EN: 0
; COMPUTE_PGM_RSRC2:TIDIG_COMP_CNT: 0
; COMPUTE_PGM_RSRC3_GFX90A:ACCUM_OFFSET: 7
; COMPUTE_PGM_RSRC3_GFX90A:TG_SPLIT: 0
	.text
	.protected	_Z2mtPK18mt_struct_strippedPfi ; -- Begin function _Z2mtPK18mt_struct_strippedPfi
	.globl	_Z2mtPK18mt_struct_strippedPfi
	.p2align	8
	.type	_Z2mtPK18mt_struct_strippedPfi,@function
_Z2mtPK18mt_struct_strippedPfi:         ; @_Z2mtPK18mt_struct_strippedPfi
; %bb.0:
	s_load_dword s3, s[0:1], 0x10
	s_waitcnt lgkmcnt(0)
	s_cmp_lt_i32 s3, 1
	s_cbranch_scc1 .LBB1_3
; %bb.1:
	s_load_dwordx4 s[4:7], s[0:1], 0x0
	s_load_dword s8, s[0:1], 0x24
	s_mov_b32 s1, 0x6c078965
	s_waitcnt lgkmcnt(0)
	v_mov_b32_e32 v2, s4
	s_and_b32 s0, s8, 0xffff
	s_mul_i32 s2, s2, s0
	v_add_u32_e32 v36, s2, v0
	v_mov_b32_e32 v3, s5
	v_ashrrev_i32_e32 v37, 31, v36
	v_lshl_add_u64 v[0:1], v[36:37], 4, v[2:3]
	global_load_dwordx4 v[32:35], v[0:1], off
	s_mov_b32 s0, 0
	s_waitcnt vmcnt(0)
	v_lshrrev_b32_e32 v1, 30, v35
	v_xor_b32_e32 v1, v1, v35
	v_mad_u64_u32 v[2:3], s[4:5], v1, s1, 1
	v_lshrrev_b32_e32 v3, 30, v2
	v_mov_b32_e32 v1, v2
	v_xor_b32_e32 v2, v3, v2
	v_mad_u64_u32 v[2:3], s[4:5], v2, s1, 2
	v_lshrrev_b32_e32 v3, 30, v2
	v_xor_b32_e32 v3, v3, v2
	v_mad_u64_u32 v[4:5], s[4:5], v3, s1, 3
	v_lshrrev_b32_e32 v5, 30, v4
	v_mov_b32_e32 v3, v4
	v_xor_b32_e32 v4, v5, v4
	v_mad_u64_u32 v[4:5], s[4:5], v4, s1, 4
	;; [unrolled: 7-line block ×8, first 2 shown]
	v_lshrrev_b32_e32 v17, 30, v16
	v_xor_b32_e32 v17, v17, v16
	v_mad_u64_u32 v[20:21], s[4:5], v17, s1, 17
	v_lshrrev_b32_e32 v17, 30, v20
	v_xor_b32_e32 v17, v17, v20
	v_mov_b32_e32 v0, v35
	v_mad_u64_u32 v[18:19], s[4:5], v17, s1, 18
	v_mov_b32_e32 v17, v20
.LBB1_2:                                ; =>This Inner Loop Header: Depth=1
	s_cmp_gt_i32 s0, 17
	s_cselect_b32 s1, 0xffffffee, 1
	s_add_i32 s1, s1, s0
	s_cmp_gt_i32 s0, 9
	s_cselect_b32 s2, -10, 9
	v_lshrrev_b32_e32 v19, 1, v35
	s_set_gpr_idx_on s1, gpr_idx(SRC0)
	v_mov_b32_e32 v20, v0
	s_set_gpr_idx_off
	v_bfe_i32 v21, v20, 0, 1
	s_add_i32 s2, s2, s0
	v_mov_b32_e32 v35, v20
	v_and_b32_e32 v20, v21, v32
	s_set_gpr_idx_on s2, gpr_idx(SRC0)
	v_mov_b32_e32 v21, v0
	s_set_gpr_idx_off
	v_xor_b32_e32 v19, v21, v19
	v_xor_b32_e32 v19, v19, v20
	v_lshrrev_b32_e32 v20, 12, v19
	v_xor_b32_e32 v20, v20, v19
	v_lshlrev_b32_e32 v21, 7, v20
	v_and_b32_e32 v21, v21, v33
	v_xor_b32_e32 v20, v21, v20
	v_lshlrev_b32_e32 v21, 15, v20
	v_and_b32_e32 v21, v21, v34
	v_xor_b32_e32 v20, v21, v20
	v_lshrrev_b32_e32 v21, 18, v20
	v_ashrrev_i32_e32 v37, 31, v36
	v_xor_b32_e32 v20, v21, v20
	v_lshl_add_u64 v[38:39], v[36:37], 2, s[6:7]
	v_cvt_f32_u32_e32 v37, v20
	s_set_gpr_idx_on s0, gpr_idx(DST)
	v_mov_b32_e32 v0, v19
	s_set_gpr_idx_off
	s_add_i32 s3, s3, -1
	v_add_u32_e32 v36, 0x1000, v36
	v_add_f32_e32 v19, 1.0, v37
	s_cmp_lg_u32 s3, 0
	s_mov_b32 s0, s1
	v_mul_f32_e32 v19, 0x2f800000, v19
	global_store_dword v[38:39], v19, off
	s_cbranch_scc1 .LBB1_2
.LBB1_3:
	s_endpgm
	.section	.rodata,"a",@progbits
	.p2align	6, 0x0
	.amdhsa_kernel _Z2mtPK18mt_struct_strippedPfi
		.amdhsa_group_segment_fixed_size 0
		.amdhsa_private_segment_fixed_size 0
		.amdhsa_kernarg_size 280
		.amdhsa_user_sgpr_count 2
		.amdhsa_user_sgpr_dispatch_ptr 0
		.amdhsa_user_sgpr_queue_ptr 0
		.amdhsa_user_sgpr_kernarg_segment_ptr 1
		.amdhsa_user_sgpr_dispatch_id 0
		.amdhsa_user_sgpr_kernarg_preload_length 0
		.amdhsa_user_sgpr_kernarg_preload_offset 0
		.amdhsa_user_sgpr_private_segment_size 0
		.amdhsa_uses_dynamic_stack 0
		.amdhsa_enable_private_segment 0
		.amdhsa_system_sgpr_workgroup_id_x 1
		.amdhsa_system_sgpr_workgroup_id_y 0
		.amdhsa_system_sgpr_workgroup_id_z 0
		.amdhsa_system_sgpr_workgroup_info 0
		.amdhsa_system_vgpr_workitem_id 0
		.amdhsa_next_free_vgpr 40
		.amdhsa_next_free_sgpr 9
		.amdhsa_accum_offset 40
		.amdhsa_reserve_vcc 0
		.amdhsa_float_round_mode_32 0
		.amdhsa_float_round_mode_16_64 0
		.amdhsa_float_denorm_mode_32 3
		.amdhsa_float_denorm_mode_16_64 3
		.amdhsa_dx10_clamp 1
		.amdhsa_ieee_mode 1
		.amdhsa_fp16_overflow 0
		.amdhsa_tg_split 0
		.amdhsa_exception_fp_ieee_invalid_op 0
		.amdhsa_exception_fp_denorm_src 0
		.amdhsa_exception_fp_ieee_div_zero 0
		.amdhsa_exception_fp_ieee_overflow 0
		.amdhsa_exception_fp_ieee_underflow 0
		.amdhsa_exception_fp_ieee_inexact 0
		.amdhsa_exception_int_div_zero 0
	.end_amdhsa_kernel
	.text
.Lfunc_end1:
	.size	_Z2mtPK18mt_struct_strippedPfi, .Lfunc_end1-_Z2mtPK18mt_struct_strippedPfi
                                        ; -- End function
	.set _Z2mtPK18mt_struct_strippedPfi.num_vgpr, 40
	.set _Z2mtPK18mt_struct_strippedPfi.num_agpr, 0
	.set _Z2mtPK18mt_struct_strippedPfi.numbered_sgpr, 9
	.set _Z2mtPK18mt_struct_strippedPfi.num_named_barrier, 0
	.set _Z2mtPK18mt_struct_strippedPfi.private_seg_size, 0
	.set _Z2mtPK18mt_struct_strippedPfi.uses_vcc, 0
	.set _Z2mtPK18mt_struct_strippedPfi.uses_flat_scratch, 0
	.set _Z2mtPK18mt_struct_strippedPfi.has_dyn_sized_stack, 0
	.set _Z2mtPK18mt_struct_strippedPfi.has_recursion, 0
	.set _Z2mtPK18mt_struct_strippedPfi.has_indirect_call, 0
	.section	.AMDGPU.csdata,"",@progbits
; Kernel info:
; codeLenInByte = 624
; TotalNumSgprs: 15
; NumVgprs: 40
; NumAgprs: 0
; TotalNumVgprs: 40
; ScratchSize: 0
; MemoryBound: 0
; FloatMode: 240
; IeeeMode: 1
; LDSByteSize: 0 bytes/workgroup (compile time only)
; SGPRBlocks: 1
; VGPRBlocks: 4
; NumSGPRsForWavesPerEU: 15
; NumVGPRsForWavesPerEU: 40
; AccumOffset: 40
; Occupancy: 8
; WaveLimiterHint : 0
; COMPUTE_PGM_RSRC2:SCRATCH_EN: 0
; COMPUTE_PGM_RSRC2:USER_SGPR: 2
; COMPUTE_PGM_RSRC2:TRAP_HANDLER: 0
; COMPUTE_PGM_RSRC2:TGID_X_EN: 1
; COMPUTE_PGM_RSRC2:TGID_Y_EN: 0
; COMPUTE_PGM_RSRC2:TGID_Z_EN: 0
; COMPUTE_PGM_RSRC2:TIDIG_COMP_CNT: 0
; COMPUTE_PGM_RSRC3_GFX90A:ACCUM_OFFSET: 9
; COMPUTE_PGM_RSRC3_GFX90A:TG_SPLIT: 0
	.text
	.p2alignl 6, 3212836864
	.fill 256, 4, 3212836864
	.section	.AMDGPU.gpr_maximums,"",@progbits
	.set amdgpu.max_num_vgpr, 0
	.set amdgpu.max_num_agpr, 0
	.set amdgpu.max_num_sgpr, 0
	.text
	.type	__hip_cuid_e9b086a4c024affb,@object ; @__hip_cuid_e9b086a4c024affb
	.section	.bss,"aw",@nobits
	.globl	__hip_cuid_e9b086a4c024affb
__hip_cuid_e9b086a4c024affb:
	.byte	0                               ; 0x0
	.size	__hip_cuid_e9b086a4c024affb, 1

	.ident	"AMD clang version 22.0.0git (https://github.com/RadeonOpenCompute/llvm-project roc-7.2.4 26084 f58b06dce1f9c15707c5f808fd002e18c2accf7e)"
	.section	".note.GNU-stack","",@progbits
	.addrsig
	.addrsig_sym __hip_cuid_e9b086a4c024affb
	.amdgpu_metadata
---
amdhsa.kernels:
  - .agpr_count:     0
    .args:
      - .address_space:  global
        .offset:         0
        .size:           8
        .value_kind:     global_buffer
      - .offset:         8
        .size:           4
        .value_kind:     by_value
      - .offset:         16
        .size:           4
        .value_kind:     hidden_block_count_x
      - .offset:         20
        .size:           4
        .value_kind:     hidden_block_count_y
      - .offset:         24
        .size:           4
        .value_kind:     hidden_block_count_z
      - .offset:         28
        .size:           2
        .value_kind:     hidden_group_size_x
      - .offset:         30
        .size:           2
        .value_kind:     hidden_group_size_y
      - .offset:         32
        .size:           2
        .value_kind:     hidden_group_size_z
      - .offset:         34
        .size:           2
        .value_kind:     hidden_remainder_x
      - .offset:         36
        .size:           2
        .value_kind:     hidden_remainder_y
      - .offset:         38
        .size:           2
        .value_kind:     hidden_remainder_z
      - .offset:         56
        .size:           8
        .value_kind:     hidden_global_offset_x
      - .offset:         64
        .size:           8
        .value_kind:     hidden_global_offset_y
      - .offset:         72
        .size:           8
        .value_kind:     hidden_global_offset_z
      - .offset:         80
        .size:           2
        .value_kind:     hidden_grid_dims
    .group_segment_fixed_size: 0
    .kernarg_segment_align: 8
    .kernarg_segment_size: 272
    .language:       OpenCL C
    .language_version:
      - 2
      - 0
    .max_flat_workgroup_size: 1024
    .name:           _Z9boxmullerPfi
    .private_segment_fixed_size: 0
    .sgpr_count:     37
    .sgpr_spill_count: 0
    .symbol:         _Z9boxmullerPfi.kd
    .uniform_work_group_size: 1
    .uses_dynamic_stack: false
    .vgpr_count:     32
    .vgpr_spill_count: 0
    .wavefront_size: 64
  - .agpr_count:     0
    .args:
      - .address_space:  global
        .offset:         0
        .size:           8
        .value_kind:     global_buffer
      - .address_space:  global
        .offset:         8
        .size:           8
        .value_kind:     global_buffer
      - .offset:         16
        .size:           4
        .value_kind:     by_value
      - .offset:         24
        .size:           4
        .value_kind:     hidden_block_count_x
      - .offset:         28
        .size:           4
        .value_kind:     hidden_block_count_y
      - .offset:         32
        .size:           4
        .value_kind:     hidden_block_count_z
      - .offset:         36
        .size:           2
        .value_kind:     hidden_group_size_x
      - .offset:         38
        .size:           2
        .value_kind:     hidden_group_size_y
      - .offset:         40
        .size:           2
        .value_kind:     hidden_group_size_z
      - .offset:         42
        .size:           2
        .value_kind:     hidden_remainder_x
      - .offset:         44
        .size:           2
        .value_kind:     hidden_remainder_y
      - .offset:         46
        .size:           2
        .value_kind:     hidden_remainder_z
      - .offset:         64
        .size:           8
        .value_kind:     hidden_global_offset_x
      - .offset:         72
        .size:           8
        .value_kind:     hidden_global_offset_y
      - .offset:         80
        .size:           8
        .value_kind:     hidden_global_offset_z
      - .offset:         88
        .size:           2
        .value_kind:     hidden_grid_dims
    .group_segment_fixed_size: 0
    .kernarg_segment_align: 8
    .kernarg_segment_size: 280
    .language:       OpenCL C
    .language_version:
      - 2
      - 0
    .max_flat_workgroup_size: 1024
    .name:           _Z2mtPK18mt_struct_strippedPfi
    .private_segment_fixed_size: 0
    .sgpr_count:     15
    .sgpr_spill_count: 0
    .symbol:         _Z2mtPK18mt_struct_strippedPfi.kd
    .uniform_work_group_size: 1
    .uses_dynamic_stack: false
    .vgpr_count:     40
    .vgpr_spill_count: 0
    .wavefront_size: 64
amdhsa.target:   amdgcn-amd-amdhsa--gfx950
amdhsa.version:
  - 1
  - 2
...

	.end_amdgpu_metadata
